;; amdgpu-corpus repo=zjin-lcf/HeCBench kind=compiled arch=gfx90a opt=O3
	.text
	.amdgcn_target "amdgcn-amd-amdhsa--gfx90a"
	.amdhsa_code_object_version 6
	.protected	_Z9hotspot3dPKfS0_Pfiiiffffffff ; -- Begin function _Z9hotspot3dPKfS0_Pfiiiffffffff
	.globl	_Z9hotspot3dPKfS0_Pfiiiffffffff
	.p2align	8
	.type	_Z9hotspot3dPKfS0_Pfiiiffffffff,@function
_Z9hotspot3dPKfS0_Pfiiiffffffff:        ; @_Z9hotspot3dPKfS0_Pfiiiffffffff
; %bb.0:
	s_load_dword s0, s[4:5], 0x54
	s_load_dwordx4 s[16:19], s[4:5], 0x0
	s_load_dwordx2 s[24:25], s[4:5], 0x10
	s_load_dwordx8 s[8:15], s[4:5], 0x18
	v_and_b32_e32 v1, 0x3ff, v0
	s_waitcnt lgkmcnt(0)
	s_lshr_b32 s1, s0, 16
	s_and_b32 s0, s0, 0xffff
	s_mul_i32 s7, s7, s1
	v_bfe_u32 v0, v0, 10, 10
	s_mul_i32 s6, s6, s0
	v_add_u32_e32 v0, s7, v0
	v_add_u32_e32 v1, s6, v1
	v_mul_lo_u32 v2, v0, s8
	v_add_u32_e32 v8, v2, v1
	v_add_u32_e32 v3, -1, v8
	v_cmp_eq_u32_e32 vcc, 0, v1
	s_add_i32 s0, s8, -1
	v_cndmask_b32_e32 v10, v3, v2, vcc
	v_cmp_ne_u32_e32 vcc, s0, v1
	v_subrev_u32_e32 v2, s8, v8
	v_cmp_eq_u32_e64 s[0:1], 0, v0
	v_cndmask_b32_e64 v2, v2, v1, s[0:1]
	s_add_i32 s0, s9, -1
	v_ashrrev_i32_e32 v9, 31, v8
	s_mul_i32 s26, s9, s8
	v_mov_b32_e32 v1, s8
	v_cmp_ne_u32_e64 s[0:1], s0, v0
	v_lshlrev_b64 v[16:17], 2, v[8:9]
	v_cndmask_b32_e64 v6, 0, v1, s[0:1]
	v_mov_b32_e32 v9, s17
	v_add_co_u32_e64 v0, s[0:1], s16, v16
	s_ashr_i32 s27, s26, 31
	v_addc_co_u32_e64 v1, s[0:1], v9, v17, s[0:1]
	s_lshl_b64 s[28:29], s[26:27], 2
	v_mov_b32_e32 v5, s29
	v_add_co_u32_e64 v4, s[0:1], s28, v0
	v_ashrrev_i32_e32 v11, 31, v10
	v_addc_co_u32_e64 v5, s[0:1], v1, v5, s[0:1]
	v_lshlrev_b64 v[12:13], 2, v[10:11]
	v_cndmask_b32_e64 v3, 0, 1, vcc
	v_add_co_u32_e64 v18, s[0:1], s16, v12
	v_addc_co_u32_e64 v19, s[0:1], v9, v13, s[0:1]
	v_lshlrev_b32_e32 v3, 2, v3
	v_add_co_u32_e64 v20, s[0:1], v0, v3
	v_ashrrev_i32_e32 v7, 31, v6
	v_addc_co_u32_e64 v21, s[0:1], 0, v1, s[0:1]
	v_lshlrev_b64 v[12:13], 2, v[6:7]
	v_add_co_u32_e64 v22, s[0:1], v0, v12
	v_ashrrev_i32_e32 v3, 31, v2
	v_addc_co_u32_e64 v23, s[0:1], v1, v13, s[0:1]
	v_lshlrev_b64 v[12:13], 2, v[2:3]
	v_add_co_u32_e64 v24, s[0:1], s16, v12
	v_addc_co_u32_e64 v25, s[0:1], v9, v13, s[0:1]
	global_load_dword v14, v[0:1], off
	global_load_dword v13, v[4:5], off
	;; [unrolled: 1-line block ×6, first 2 shown]
	v_mov_b32_e32 v1, s19
	v_add_co_u32_e64 v0, s[0:1], s18, v16
	v_addc_co_u32_e64 v1, s[0:1], v1, v17, s[0:1]
	global_load_dword v1, v[0:1], off
	s_load_dwordx4 s[20:23], s[4:5], 0x38
	v_mov_b32_e32 v15, s25
	v_add_co_u32_e64 v16, s[0:1], s24, v16
	s_mov_b32 s5, s15
	s_waitcnt lgkmcnt(0)
	s_mov_b32 s4, s20
	v_addc_co_u32_e64 v17, s[0:1], v15, v17, s[0:1]
	v_mov_b32_e32 v12, 0x42a00000
	v_add_u32_e32 v4, s26, v8
	v_mul_f32_e32 v0, s15, v12
	v_ashrrev_i32_e32 v5, 31, v4
	v_add_u32_e32 v6, v4, v6
	v_add_u32_e32 v2, s26, v2
	s_cmp_lt_i32 s10, 3
	v_add_u32_e32 v10, s26, v10
	s_waitcnt vmcnt(5)
	v_mov_b32_e32 v15, v13
	s_waitcnt vmcnt(4)
	v_mul_f32_e32 v3, s12, v3
	v_fmac_f32_e32 v3, s21, v14
	s_waitcnt vmcnt(3)
	v_fmac_f32_e32 v3, s11, v7
	s_waitcnt vmcnt(2)
	v_fmac_f32_e32 v3, s14, v9
	v_pk_mul_f32 v[18:19], v[14:15], s[4:5]
	s_waitcnt vmcnt(1)
	v_fmac_f32_e32 v3, s13, v11
	v_add_f32_e32 v3, v18, v3
	v_add_f32_e32 v3, v19, v3
	s_waitcnt vmcnt(0)
	v_fmac_f32_e32 v3, s22, v1
	v_mov_b32_e32 v1, s26
	v_fmac_f32_e32 v3, s15, v12
	v_addc_co_u32_e32 v8, vcc, v8, v1, vcc
	global_store_dword v[16:17], v3, off
	s_cbranch_scc1 .LBB0_12
; %bb.1:
	s_add_i32 s33, s10, -2
	s_cmp_gt_u32 s33, 1
	s_mov_b32 s3, 1
	s_cbranch_scc0 .LBB0_6
; %bb.2:
	s_and_b32 s36, s33, -2
	v_add_u32_e32 v11, s26, v10
	s_lshl_b32 s39, s26, 1
	v_add_u32_e32 v9, s26, v8
	v_add_u32_e32 v3, s26, v2
	;; [unrolled: 1-line block ×4, first 2 shown]
	s_mov_b32 s2, s20
	s_mov_b32 s37, s26
	s_mov_b32 s38, s26
	s_mov_b32 s40, s39
	s_mov_b32 s0, s21
	s_mov_b32 s1, s21
	s_mov_b32 s6, s12
	s_mov_b32 s7, s12
	s_mov_b32 s8, s11
	s_mov_b32 s9, s11
	s_mov_b32 s30, s14
	s_mov_b32 s31, s14
	s_mov_b32 s34, s13
	s_mov_b32 s35, s13
	s_mov_b32 s3, s20
	s_mov_b32 s4, s15
	s_mov_b32 s5, s15
	s_mov_b32 s23, s22
	v_mov_b32_e32 v1, v0
	v_mov_b32_e32 v30, s17
	;; [unrolled: 1-line block ×4, first 2 shown]
	s_mov_b32 s41, s36
	v_pk_mov_b32 v[18:19], v[10:11], v[10:11] op_sel:[0,1]
	v_pk_mov_b32 v[20:21], v[8:9], v[8:9] op_sel:[0,1]
	;; [unrolled: 1-line block ×5, first 2 shown]
.LBB0_3:                                ; =>This Inner Loop Header: Depth=1
	v_ashrrev_i32_e32 v37, 31, v18
	v_mov_b32_e32 v36, v18
	v_lshlrev_b64 v[36:37], 2, v[36:37]
	v_ashrrev_i32_e32 v35, 31, v19
	v_mov_b32_e32 v34, v19
	v_add_co_u32_e32 v36, vcc, s16, v36
	v_lshlrev_b64 v[34:35], 2, v[34:35]
	v_addc_co_u32_e32 v37, vcc, v30, v37, vcc
	v_ashrrev_i32_e32 v41, 31, v20
	v_mov_b32_e32 v40, v20
	v_add_co_u32_e32 v34, vcc, s16, v34
	v_lshlrev_b64 v[40:41], 2, v[40:41]
	v_addc_co_u32_e32 v35, vcc, v30, v35, vcc
	;; [unrolled: 5-line block ×8, first 2 shown]
	v_ashrrev_i32_e32 v51, 31, v27
	v_mov_b32_e32 v50, v27
	v_add_co_u32_e32 v56, vcc, s18, v52
	v_add_u32_e32 v12, s37, v26
	v_lshlrev_b64 v[50:51], 2, v[50:51]
	v_addc_co_u32_e32 v57, vcc, v31, v53, vcc
	v_mov_b32_e32 v28, v13
	v_ashrrev_i32_e32 v13, 31, v12
	v_add_co_u32_e32 v58, vcc, s18, v50
	v_add_u32_e32 v16, s38, v27
	v_lshlrev_b64 v[12:13], 2, v[12:13]
	v_addc_co_u32_e32 v59, vcc, v31, v51, vcc
	v_ashrrev_i32_e32 v17, 31, v16
	v_add_co_u32_e32 v60, vcc, s16, v12
	v_lshlrev_b64 v[54:55], 2, v[16:17]
	v_addc_co_u32_e32 v61, vcc, v30, v13, vcc
	v_add_co_u32_e32 v54, vcc, s16, v54
	v_addc_co_u32_e32 v55, vcc, v30, v55, vcc
	global_load_dword v62, v[48:49], off
	global_load_dword v12, v[60:61], off
	;; [unrolled: 1-line block ×12, first 2 shown]
	v_mov_b32_e32 v15, v28
	v_add_co_u32_e32 v34, vcc, s24, v52
	s_add_i32 s41, s41, -2
	v_addc_co_u32_e32 v35, vcc, v32, v53, vcc
	v_add_u32_e32 v19, s40, v19
	v_add_u32_e32 v18, s39, v18
	;; [unrolled: 1-line block ×10, first 2 shown]
	s_cmp_lg_u32 s41, 0
	v_add_co_u32_e32 v36, vcc, s24, v50
	v_addc_co_u32_e32 v37, vcc, v32, v51, vcc
	s_waitcnt vmcnt(10)
	v_mov_b32_e32 v29, v12
	s_waitcnt vmcnt(7)
	v_pk_mul_f32 v[38:39], v[64:65], s[6:7]
	v_pk_fma_f32 v[28:29], v[28:29], s[0:1], v[38:39]
	s_waitcnt vmcnt(5)
	v_pk_fma_f32 v[28:29], v[66:67], s[8:9], v[28:29]
	s_waitcnt vmcnt(3)
	;; [unrolled: 2-line block ×3, first 2 shown]
	v_pk_fma_f32 v[28:29], v[62:63], s[34:35], v[28:29]
	v_pk_fma_f32 v[28:29], v[14:15], s[2:3], v[28:29]
	;; [unrolled: 1-line block ×3, first 2 shown]
	s_waitcnt vmcnt(0)
	v_pk_fma_f32 v[28:29], v[70:71], s[22:23], v[28:29]
	v_mov_b32_e32 v14, v12
	v_pk_add_f32 v[28:29], v[0:1], v[28:29]
	global_store_dword v[34:35], v28, off
	global_store_dword v[36:37], v29, off
	s_cbranch_scc1 .LBB0_3
; %bb.4:
	s_mul_i32 s0, s36, s26
	v_add_u32_e32 v10, s0, v10
	v_add_u32_e32 v8, s0, v8
	;; [unrolled: 1-line block ×3, first 2 shown]
	s_cmp_eq_u32 s33, s36
	v_add_u32_e32 v6, s0, v6
	s_cbranch_scc1 .LBB0_7
; %bb.5:
	v_add_u32_e32 v4, s0, v4
	s_or_b32 s3, s33, 1
	v_ashrrev_i32_e32 v5, 31, v4
                                        ; implicit-def: $vgpr19
                                        ; implicit-def: $vgpr16_vgpr17
	v_mov_b32_e32 v14, v12
	s_cbranch_execnz .LBB0_8
	s_branch .LBB0_11
.LBB0_6:
                                        ; implicit-def: $vgpr19
                                        ; implicit-def: $vgpr16_vgpr17
	s_cbranch_execnz .LBB0_8
	s_branch .LBB0_11
.LBB0_7:
	v_pk_mul_f32 v[18:19], v[12:13], s[4:5]
	s_mov_b32 s3, 1
                                        ; implicit-def: $vgpr4_vgpr5
	v_mov_b32_e32 v14, v12
	s_branch .LBB0_11
.LBB0_8:
	v_ashrrev_i32_e32 v11, 31, v10
	v_lshlrev_b64 v[16:17], 2, v[10:11]
	v_mov_b32_e32 v12, s17
	v_add_co_u32_e32 v1, vcc, s16, v16
	v_ashrrev_i32_e32 v9, 31, v8
	v_addc_co_u32_e32 v11, vcc, v12, v17, vcc
	v_lshlrev_b64 v[16:17], 2, v[8:9]
	v_add_co_u32_e32 v9, vcc, s16, v16
	v_ashrrev_i32_e32 v3, 31, v2
	v_addc_co_u32_e32 v15, vcc, v12, v17, vcc
	v_lshlrev_b64 v[16:17], 2, v[2:3]
	;; [unrolled: 4-line block ×3, first 2 shown]
	v_add_co_u32_e32 v7, vcc, s16, v18
	v_addc_co_u32_e32 v17, vcc, v12, v19, vcc
	v_mov_b32_e32 v18, s27
	v_add_co_u32_e32 v20, vcc, s26, v4
	v_addc_co_u32_e32 v21, vcc, v5, v18, vcc
	v_lshlrev_b64 v[20:21], 2, v[20:21]
	v_add_co_u32_e32 v19, vcc, s16, v20
	v_addc_co_u32_e32 v20, vcc, v12, v21, vcc
	v_lshlrev_b64 v[24:25], 2, v[4:5]
	v_mov_b32_e32 v12, s19
	v_add_co_u32_e32 v21, vcc, s18, v24
	v_addc_co_u32_e32 v22, vcc, v12, v25, vcc
	s_not_b32 s0, s3
	v_mov_b32_e32 v12, s25
	v_add_co_u32_e32 v23, vcc, s24, v24
	s_add_i32 s10, s0, s10
	v_addc_co_u32_e32 v24, vcc, v12, v25, vcc
	s_mov_b32 s23, 0
	s_mov_b64 s[30:31], 0
.LBB0_9:                                ; =>This Inner Loop Header: Depth=1
	v_mov_b32_e32 v25, s31
	v_add_co_u32_e32 v26, vcc, s30, v1
	v_add_co_u32_e64 v28, s[0:1], s30, v9
	v_add_co_u32_e64 v30, s[2:3], s30, v7
	;; [unrolled: 1-line block ×4, first 2 shown]
	v_addc_co_u32_e32 v27, vcc, v11, v25, vcc
	v_mov_b32_e32 v12, v13
	v_addc_co_u32_e64 v37, s[8:9], v20, v25, s[8:9]
	v_addc_co_u32_e64 v29, vcc, v15, v25, s[0:1]
	v_addc_co_u32_e64 v31, vcc, v17, v25, s[2:3]
	;; [unrolled: 1-line block ×3, first 2 shown]
	global_load_dword v38, v[26:27], off
	global_load_dword v13, v[36:37], off
	;; [unrolled: 1-line block ×5, first 2 shown]
	v_add_co_u32_e64 v34, s[6:7], s30, v21
	v_addc_co_u32_e64 v35, vcc, v22, v25, s[6:7]
	global_load_dword v28, v[34:35], off
	v_add_co_u32_e32 v4, vcc, s26, v4
	v_addc_co_u32_e32 v5, vcc, v5, v18, vcc
	v_add_co_u32_e32 v26, vcc, s30, v23
	v_addc_co_u32_e32 v27, vcc, v24, v25, vcc
	s_add_i32 s23, s23, s26
	s_add_u32 s30, s30, s28
	s_addc_u32 s31, s31, s29
	s_add_i32 s10, s10, -1
	s_cmp_eq_u32 s10, 0
	s_waitcnt vmcnt(5)
	v_mul_f32_e32 v25, s12, v38
	v_fmac_f32_e32 v25, s21, v12
	s_waitcnt vmcnt(3)
	v_fmac_f32_e32 v25, s11, v39
	s_waitcnt vmcnt(2)
	;; [unrolled: 2-line block ×3, first 2 shown]
	v_fmac_f32_e32 v25, s13, v41
	v_fmac_f32_e32 v25, s20, v14
	;; [unrolled: 1-line block ×3, first 2 shown]
	v_mov_b32_e32 v14, v12
	s_waitcnt vmcnt(0)
	v_fmac_f32_e32 v25, s22, v28
	v_add_f32_e32 v25, v0, v25
	global_store_dword v[26:27], v25, off
	s_cbranch_scc0 .LBB0_9
; %bb.10:
	v_mul_f32_e32 v19, s15, v13
	v_add_u32_e32 v6, s23, v6
	v_add_u32_e32 v2, s23, v2
	v_add_u32_e32 v8, s23, v8
	v_add_u32_e32 v10, s23, v10
	v_pk_mov_b32 v[16:17], v[4:5], v[4:5] op_sel:[0,1]
.LBB0_11:
	v_mul_f32_e32 v18, s20, v12
	v_pk_mov_b32 v[4:5], v[16:17], v[16:17] op_sel:[0,1]
.LBB0_12:
	v_ashrrev_i32_e32 v11, 31, v10
	v_lshlrev_b64 v[10:11], 2, v[10:11]
	v_mov_b32_e32 v1, s17
	v_add_co_u32_e32 v10, vcc, s16, v10
	v_ashrrev_i32_e32 v9, 31, v8
	v_addc_co_u32_e32 v11, vcc, v1, v11, vcc
	v_lshlrev_b64 v[8:9], 2, v[8:9]
	v_add_co_u32_e32 v8, vcc, s16, v8
	v_ashrrev_i32_e32 v7, 31, v6
	v_addc_co_u32_e32 v9, vcc, v1, v9, vcc
	v_lshlrev_b64 v[6:7], 2, v[6:7]
	v_add_co_u32_e32 v6, vcc, s16, v6
	v_ashrrev_i32_e32 v3, 31, v2
	v_addc_co_u32_e32 v7, vcc, v1, v7, vcc
	v_lshlrev_b64 v[2:3], 2, v[2:3]
	v_add_co_u32_e32 v2, vcc, s16, v2
	v_addc_co_u32_e32 v3, vcc, v1, v3, vcc
	global_load_dword v1, v[10:11], off
	global_load_dword v12, v[8:9], off
	;; [unrolled: 1-line block ×4, first 2 shown]
	v_lshlrev_b64 v[2:3], 2, v[4:5]
	v_mov_b32_e32 v5, s19
	v_add_co_u32_e32 v4, vcc, s18, v2
	v_addc_co_u32_e32 v5, vcc, v5, v3, vcc
	global_load_dword v4, v[4:5], off
	v_mov_b32_e32 v5, s25
	s_waitcnt vmcnt(4)
	v_mul_f32_e32 v1, s12, v1
	v_fmac_f32_e32 v1, s21, v13
	s_waitcnt vmcnt(3)
	v_fmac_f32_e32 v1, s11, v12
	s_waitcnt vmcnt(2)
	;; [unrolled: 2-line block ×3, first 2 shown]
	v_fmac_f32_e32 v1, s13, v15
	v_add_f32_e32 v1, v18, v1
	v_add_f32_e32 v1, v19, v1
	s_waitcnt vmcnt(0)
	v_fmac_f32_e32 v1, s22, v4
	v_add_f32_e32 v4, v0, v1
	v_add_co_u32_e32 v0, vcc, s24, v2
	v_addc_co_u32_e32 v1, vcc, v5, v3, vcc
	global_store_dword v[0:1], v4, off
	s_endpgm
	.section	.rodata,"a",@progbits
	.p2align	6, 0x0
	.amdhsa_kernel _Z9hotspot3dPKfS0_Pfiiiffffffff
		.amdhsa_group_segment_fixed_size 0
		.amdhsa_private_segment_fixed_size 0
		.amdhsa_kernarg_size 328
		.amdhsa_user_sgpr_count 6
		.amdhsa_user_sgpr_private_segment_buffer 1
		.amdhsa_user_sgpr_dispatch_ptr 0
		.amdhsa_user_sgpr_queue_ptr 0
		.amdhsa_user_sgpr_kernarg_segment_ptr 1
		.amdhsa_user_sgpr_dispatch_id 0
		.amdhsa_user_sgpr_flat_scratch_init 0
		.amdhsa_user_sgpr_kernarg_preload_length 0
		.amdhsa_user_sgpr_kernarg_preload_offset 0
		.amdhsa_user_sgpr_private_segment_size 0
		.amdhsa_uses_dynamic_stack 0
		.amdhsa_system_sgpr_private_segment_wavefront_offset 0
		.amdhsa_system_sgpr_workgroup_id_x 1
		.amdhsa_system_sgpr_workgroup_id_y 1
		.amdhsa_system_sgpr_workgroup_id_z 0
		.amdhsa_system_sgpr_workgroup_info 0
		.amdhsa_system_vgpr_workitem_id 1
		.amdhsa_next_free_vgpr 72
		.amdhsa_next_free_sgpr 42
		.amdhsa_accum_offset 72
		.amdhsa_reserve_vcc 1
		.amdhsa_reserve_flat_scratch 0
		.amdhsa_float_round_mode_32 0
		.amdhsa_float_round_mode_16_64 0
		.amdhsa_float_denorm_mode_32 3
		.amdhsa_float_denorm_mode_16_64 3
		.amdhsa_dx10_clamp 1
		.amdhsa_ieee_mode 1
		.amdhsa_fp16_overflow 0
		.amdhsa_tg_split 0
		.amdhsa_exception_fp_ieee_invalid_op 0
		.amdhsa_exception_fp_denorm_src 0
		.amdhsa_exception_fp_ieee_div_zero 0
		.amdhsa_exception_fp_ieee_overflow 0
		.amdhsa_exception_fp_ieee_underflow 0
		.amdhsa_exception_fp_ieee_inexact 0
		.amdhsa_exception_int_div_zero 0
	.end_amdhsa_kernel
	.text
.Lfunc_end0:
	.size	_Z9hotspot3dPKfS0_Pfiiiffffffff, .Lfunc_end0-_Z9hotspot3dPKfS0_Pfiiiffffffff
                                        ; -- End function
	.section	.AMDGPU.csdata,"",@progbits
; Kernel info:
; codeLenInByte = 2088
; NumSgprs: 46
; NumVgprs: 72
; NumAgprs: 0
; TotalNumVgprs: 72
; ScratchSize: 0
; MemoryBound: 0
; FloatMode: 240
; IeeeMode: 1
; LDSByteSize: 0 bytes/workgroup (compile time only)
; SGPRBlocks: 5
; VGPRBlocks: 8
; NumSGPRsForWavesPerEU: 46
; NumVGPRsForWavesPerEU: 72
; AccumOffset: 72
; Occupancy: 7
; WaveLimiterHint : 0
; COMPUTE_PGM_RSRC2:SCRATCH_EN: 0
; COMPUTE_PGM_RSRC2:USER_SGPR: 6
; COMPUTE_PGM_RSRC2:TRAP_HANDLER: 0
; COMPUTE_PGM_RSRC2:TGID_X_EN: 1
; COMPUTE_PGM_RSRC2:TGID_Y_EN: 1
; COMPUTE_PGM_RSRC2:TGID_Z_EN: 0
; COMPUTE_PGM_RSRC2:TIDIG_COMP_CNT: 1
; COMPUTE_PGM_RSRC3_GFX90A:ACCUM_OFFSET: 17
; COMPUTE_PGM_RSRC3_GFX90A:TG_SPLIT: 0
	.text
	.p2alignl 6, 3212836864
	.fill 256, 4, 3212836864
	.type	__hip_cuid_e1899ca2775b535,@object ; @__hip_cuid_e1899ca2775b535
	.section	.bss,"aw",@nobits
	.globl	__hip_cuid_e1899ca2775b535
__hip_cuid_e1899ca2775b535:
	.byte	0                               ; 0x0
	.size	__hip_cuid_e1899ca2775b535, 1

	.ident	"AMD clang version 19.0.0git (https://github.com/RadeonOpenCompute/llvm-project roc-6.4.0 25133 c7fe45cf4b819c5991fe208aaa96edf142730f1d)"
	.section	".note.GNU-stack","",@progbits
	.addrsig
	.addrsig_sym __hip_cuid_e1899ca2775b535
	.amdgpu_metadata
---
amdhsa.kernels:
  - .agpr_count:     0
    .args:
      - .actual_access:  read_only
        .address_space:  global
        .offset:         0
        .size:           8
        .value_kind:     global_buffer
      - .actual_access:  read_only
        .address_space:  global
        .offset:         8
        .size:           8
        .value_kind:     global_buffer
      - .actual_access:  write_only
        .address_space:  global
        .offset:         16
        .size:           8
        .value_kind:     global_buffer
      - .offset:         24
        .size:           4
        .value_kind:     by_value
      - .offset:         28
        .size:           4
        .value_kind:     by_value
      - .offset:         32
        .size:           4
        .value_kind:     by_value
      - .offset:         36
        .size:           4
        .value_kind:     by_value
      - .offset:         40
        .size:           4
        .value_kind:     by_value
      - .offset:         44
        .size:           4
        .value_kind:     by_value
      - .offset:         48
        .size:           4
        .value_kind:     by_value
      - .offset:         52
        .size:           4
        .value_kind:     by_value
      - .offset:         56
        .size:           4
        .value_kind:     by_value
      - .offset:         60
        .size:           4
        .value_kind:     by_value
      - .offset:         64
        .size:           4
        .value_kind:     by_value
      - .offset:         72
        .size:           4
        .value_kind:     hidden_block_count_x
      - .offset:         76
        .size:           4
        .value_kind:     hidden_block_count_y
      - .offset:         80
        .size:           4
        .value_kind:     hidden_block_count_z
      - .offset:         84
        .size:           2
        .value_kind:     hidden_group_size_x
      - .offset:         86
        .size:           2
        .value_kind:     hidden_group_size_y
      - .offset:         88
        .size:           2
        .value_kind:     hidden_group_size_z
      - .offset:         90
        .size:           2
        .value_kind:     hidden_remainder_x
      - .offset:         92
        .size:           2
        .value_kind:     hidden_remainder_y
      - .offset:         94
        .size:           2
        .value_kind:     hidden_remainder_z
      - .offset:         112
        .size:           8
        .value_kind:     hidden_global_offset_x
      - .offset:         120
        .size:           8
        .value_kind:     hidden_global_offset_y
      - .offset:         128
        .size:           8
        .value_kind:     hidden_global_offset_z
      - .offset:         136
        .size:           2
        .value_kind:     hidden_grid_dims
    .group_segment_fixed_size: 0
    .kernarg_segment_align: 8
    .kernarg_segment_size: 328
    .language:       OpenCL C
    .language_version:
      - 2
      - 0
    .max_flat_workgroup_size: 1024
    .name:           _Z9hotspot3dPKfS0_Pfiiiffffffff
    .private_segment_fixed_size: 0
    .sgpr_count:     46
    .sgpr_spill_count: 0
    .symbol:         _Z9hotspot3dPKfS0_Pfiiiffffffff.kd
    .uniform_work_group_size: 1
    .uses_dynamic_stack: false
    .vgpr_count:     72
    .vgpr_spill_count: 0
    .wavefront_size: 64
amdhsa.target:   amdgcn-amd-amdhsa--gfx90a
amdhsa.version:
  - 1
  - 2
...

	.end_amdgpu_metadata
